;; amdgpu-corpus repo=ROCm/rocFFT kind=compiled arch=gfx950 opt=O3
	.text
	.amdgcn_target "amdgcn-amd-amdhsa--gfx950"
	.amdhsa_code_object_version 6
	.protected	fft_rtc_fwd_len576_factors_16_6_6_wgs_96_tpt_96_halfLds_sp_ip_CI_unitstride_sbrr_dirReg ; -- Begin function fft_rtc_fwd_len576_factors_16_6_6_wgs_96_tpt_96_halfLds_sp_ip_CI_unitstride_sbrr_dirReg
	.globl	fft_rtc_fwd_len576_factors_16_6_6_wgs_96_tpt_96_halfLds_sp_ip_CI_unitstride_sbrr_dirReg
	.p2align	8
	.type	fft_rtc_fwd_len576_factors_16_6_6_wgs_96_tpt_96_halfLds_sp_ip_CI_unitstride_sbrr_dirReg,@function
fft_rtc_fwd_len576_factors_16_6_6_wgs_96_tpt_96_halfLds_sp_ip_CI_unitstride_sbrr_dirReg: ; @fft_rtc_fwd_len576_factors_16_6_6_wgs_96_tpt_96_halfLds_sp_ip_CI_unitstride_sbrr_dirReg
; %bb.0:
	s_load_dwordx2 s[8:9], s[0:1], 0x50
	s_load_dwordx4 s[4:7], s[0:1], 0x0
	s_load_dwordx2 s[10:11], s[0:1], 0x18
	v_mul_u32_u24_e32 v1, 0x2ab, v0
	v_add_u32_sdwa v6, s2, v1 dst_sel:DWORD dst_unused:UNUSED_PAD src0_sel:DWORD src1_sel:WORD_1
	v_mov_b32_e32 v4, 0
	s_waitcnt lgkmcnt(0)
	v_cmp_lt_u64_e64 s[2:3], s[6:7], 2
	v_mov_b32_e32 v7, v4
	s_and_b64 vcc, exec, s[2:3]
	v_mov_b64_e32 v[2:3], 0
	s_cbranch_vccnz .LBB0_8
; %bb.1:
	s_load_dwordx2 s[2:3], s[0:1], 0x10
	s_add_u32 s12, s10, 8
	s_addc_u32 s13, s11, 0
	s_mov_b64 s[14:15], 1
	v_mov_b64_e32 v[2:3], 0
	s_waitcnt lgkmcnt(0)
	s_add_u32 s16, s2, 8
	s_addc_u32 s17, s3, 0
.LBB0_2:                                ; =>This Inner Loop Header: Depth=1
	s_load_dwordx2 s[18:19], s[16:17], 0x0
                                        ; implicit-def: $vgpr8_vgpr9
	s_waitcnt lgkmcnt(0)
	v_or_b32_e32 v5, s19, v7
	v_cmp_ne_u64_e32 vcc, 0, v[4:5]
	s_and_saveexec_b64 s[2:3], vcc
	s_xor_b64 s[20:21], exec, s[2:3]
	s_cbranch_execz .LBB0_4
; %bb.3:                                ;   in Loop: Header=BB0_2 Depth=1
	v_cvt_f32_u32_e32 v1, s18
	v_cvt_f32_u32_e32 v5, s19
	s_sub_u32 s2, 0, s18
	s_subb_u32 s3, 0, s19
	v_fmac_f32_e32 v1, 0x4f800000, v5
	v_rcp_f32_e32 v1, v1
	s_nop 0
	v_mul_f32_e32 v1, 0x5f7ffffc, v1
	v_mul_f32_e32 v5, 0x2f800000, v1
	v_trunc_f32_e32 v5, v5
	v_fmac_f32_e32 v1, 0xcf800000, v5
	v_cvt_u32_f32_e32 v5, v5
	v_cvt_u32_f32_e32 v1, v1
	v_mul_lo_u32 v8, s2, v5
	v_mul_hi_u32 v10, s2, v1
	v_mul_lo_u32 v9, s3, v1
	v_add_u32_e32 v10, v10, v8
	v_mul_lo_u32 v12, s2, v1
	v_add_u32_e32 v13, v10, v9
	v_mul_hi_u32 v8, v1, v12
	v_mul_hi_u32 v11, v1, v13
	v_mul_lo_u32 v10, v1, v13
	v_mov_b32_e32 v9, v4
	v_lshl_add_u64 v[8:9], v[8:9], 0, v[10:11]
	v_mul_hi_u32 v11, v5, v12
	v_mul_lo_u32 v12, v5, v12
	v_add_co_u32_e32 v8, vcc, v8, v12
	v_mul_hi_u32 v10, v5, v13
	s_nop 0
	v_addc_co_u32_e32 v8, vcc, v9, v11, vcc
	v_mov_b32_e32 v9, v4
	s_nop 0
	v_addc_co_u32_e32 v11, vcc, 0, v10, vcc
	v_mul_lo_u32 v10, v5, v13
	v_lshl_add_u64 v[8:9], v[8:9], 0, v[10:11]
	v_add_co_u32_e32 v1, vcc, v1, v8
	v_mul_lo_u32 v10, s2, v1
	s_nop 0
	v_addc_co_u32_e32 v5, vcc, v5, v9, vcc
	v_mul_lo_u32 v8, s2, v5
	v_mul_hi_u32 v9, s2, v1
	v_add_u32_e32 v8, v9, v8
	v_mul_lo_u32 v9, s3, v1
	v_add_u32_e32 v12, v8, v9
	v_mul_hi_u32 v14, v5, v10
	v_mul_lo_u32 v15, v5, v10
	v_mul_hi_u32 v9, v1, v12
	v_mul_lo_u32 v8, v1, v12
	v_mul_hi_u32 v10, v1, v10
	v_mov_b32_e32 v11, v4
	v_lshl_add_u64 v[8:9], v[10:11], 0, v[8:9]
	v_add_co_u32_e32 v8, vcc, v8, v15
	v_mul_hi_u32 v13, v5, v12
	s_nop 0
	v_addc_co_u32_e32 v8, vcc, v9, v14, vcc
	v_mul_lo_u32 v10, v5, v12
	s_nop 0
	v_addc_co_u32_e32 v11, vcc, 0, v13, vcc
	v_mov_b32_e32 v9, v4
	v_lshl_add_u64 v[8:9], v[8:9], 0, v[10:11]
	v_add_co_u32_e32 v1, vcc, v1, v8
	v_mul_hi_u32 v10, v6, v1
	s_nop 0
	v_addc_co_u32_e32 v5, vcc, v5, v9, vcc
	v_mad_u64_u32 v[8:9], s[2:3], v6, v5, 0
	v_mov_b32_e32 v11, v4
	v_lshl_add_u64 v[8:9], v[10:11], 0, v[8:9]
	v_mad_u64_u32 v[12:13], s[2:3], v7, v1, 0
	v_add_co_u32_e32 v1, vcc, v8, v12
	v_mad_u64_u32 v[10:11], s[2:3], v7, v5, 0
	s_nop 0
	v_addc_co_u32_e32 v8, vcc, v9, v13, vcc
	v_mov_b32_e32 v9, v4
	s_nop 0
	v_addc_co_u32_e32 v11, vcc, 0, v11, vcc
	v_lshl_add_u64 v[8:9], v[8:9], 0, v[10:11]
	v_mul_lo_u32 v1, s19, v8
	v_mul_lo_u32 v5, s18, v9
	v_mad_u64_u32 v[10:11], s[2:3], s18, v8, 0
	v_add3_u32 v1, v11, v5, v1
	v_sub_u32_e32 v5, v7, v1
	v_mov_b32_e32 v11, s19
	v_sub_co_u32_e32 v14, vcc, v6, v10
	v_lshl_add_u64 v[12:13], v[8:9], 0, 1
	s_nop 0
	v_subb_co_u32_e64 v5, s[2:3], v5, v11, vcc
	v_subrev_co_u32_e64 v10, s[2:3], s18, v14
	v_subb_co_u32_e32 v1, vcc, v7, v1, vcc
	s_nop 0
	v_subbrev_co_u32_e64 v5, s[2:3], 0, v5, s[2:3]
	v_cmp_le_u32_e64 s[2:3], s19, v5
	v_cmp_le_u32_e32 vcc, s19, v1
	s_nop 0
	v_cndmask_b32_e64 v11, 0, -1, s[2:3]
	v_cmp_le_u32_e64 s[2:3], s18, v10
	s_nop 1
	v_cndmask_b32_e64 v10, 0, -1, s[2:3]
	v_cmp_eq_u32_e64 s[2:3], s19, v5
	s_nop 1
	v_cndmask_b32_e64 v5, v11, v10, s[2:3]
	v_lshl_add_u64 v[10:11], v[8:9], 0, 2
	v_cmp_ne_u32_e64 s[2:3], 0, v5
	s_nop 1
	v_cndmask_b32_e64 v5, v13, v11, s[2:3]
	v_cndmask_b32_e64 v11, 0, -1, vcc
	v_cmp_le_u32_e32 vcc, s18, v14
	s_nop 1
	v_cndmask_b32_e64 v13, 0, -1, vcc
	v_cmp_eq_u32_e32 vcc, s19, v1
	s_nop 1
	v_cndmask_b32_e32 v1, v11, v13, vcc
	v_cmp_ne_u32_e32 vcc, 0, v1
	v_cndmask_b32_e64 v1, v12, v10, s[2:3]
	s_nop 0
	v_cndmask_b32_e32 v9, v9, v5, vcc
	v_cndmask_b32_e32 v8, v8, v1, vcc
.LBB0_4:                                ;   in Loop: Header=BB0_2 Depth=1
	s_andn2_saveexec_b64 s[2:3], s[20:21]
	s_cbranch_execz .LBB0_6
; %bb.5:                                ;   in Loop: Header=BB0_2 Depth=1
	v_cvt_f32_u32_e32 v1, s18
	s_sub_i32 s20, 0, s18
	v_rcp_iflag_f32_e32 v1, v1
	s_nop 0
	v_mul_f32_e32 v1, 0x4f7ffffe, v1
	v_cvt_u32_f32_e32 v1, v1
	v_mul_lo_u32 v5, s20, v1
	v_mul_hi_u32 v5, v1, v5
	v_add_u32_e32 v1, v1, v5
	v_mul_hi_u32 v1, v6, v1
	v_mul_lo_u32 v5, v1, s18
	v_sub_u32_e32 v5, v6, v5
	v_add_u32_e32 v8, 1, v1
	v_subrev_u32_e32 v9, s18, v5
	v_cmp_le_u32_e32 vcc, s18, v5
	s_nop 1
	v_cndmask_b32_e32 v5, v5, v9, vcc
	v_cndmask_b32_e32 v1, v1, v8, vcc
	v_add_u32_e32 v8, 1, v1
	v_cmp_le_u32_e32 vcc, s18, v5
	v_mov_b32_e32 v9, v4
	s_nop 0
	v_cndmask_b32_e32 v8, v1, v8, vcc
.LBB0_6:                                ;   in Loop: Header=BB0_2 Depth=1
	s_or_b64 exec, exec, s[2:3]
	v_mad_u64_u32 v[10:11], s[2:3], v8, s18, 0
	s_load_dwordx2 s[2:3], s[12:13], 0x0
	v_mul_lo_u32 v1, v9, s18
	v_mul_lo_u32 v5, v8, s19
	v_add3_u32 v1, v11, v5, v1
	v_sub_co_u32_e32 v5, vcc, v6, v10
	s_add_u32 s14, s14, 1
	s_nop 0
	v_subb_co_u32_e32 v1, vcc, v7, v1, vcc
	s_addc_u32 s15, s15, 0
	s_waitcnt lgkmcnt(0)
	v_mul_lo_u32 v1, s2, v1
	v_mul_lo_u32 v6, s3, v5
	v_mad_u64_u32 v[2:3], s[2:3], s2, v5, v[2:3]
	s_add_u32 s12, s12, 8
	v_add3_u32 v3, v6, v3, v1
	s_addc_u32 s13, s13, 0
	v_mov_b64_e32 v[6:7], s[6:7]
	s_add_u32 s16, s16, 8
	v_cmp_ge_u64_e32 vcc, s[14:15], v[6:7]
	s_addc_u32 s17, s17, 0
	s_cbranch_vccnz .LBB0_9
; %bb.7:                                ;   in Loop: Header=BB0_2 Depth=1
	v_mov_b64_e32 v[6:7], v[8:9]
	s_branch .LBB0_2
.LBB0_8:
	v_mov_b64_e32 v[8:9], v[6:7]
.LBB0_9:
	s_lshl_b64 s[2:3], s[6:7], 3
	s_add_u32 s2, s10, s2
	s_addc_u32 s3, s11, s3
	s_load_dwordx2 s[6:7], s[2:3], 0x0
	s_load_dwordx2 s[10:11], s[0:1], 0x20
	v_mov_b32_e32 v6, 0
	v_mov_b32_e32 v7, v6
	;; [unrolled: 1-line block ×3, first 2 shown]
	s_waitcnt lgkmcnt(0)
	v_mad_u64_u32 v[2:3], s[0:1], s6, v8, v[2:3]
	v_mul_lo_u32 v1, s6, v9
	v_mul_lo_u32 v4, s7, v8
	s_mov_b32 s0, 0x2aaaaab
	v_add3_u32 v3, v4, v3, v1
	v_mul_hi_u32 v1, v0, s0
	v_mul_u32_u24_e32 v1, 0x60, v1
	v_cmp_gt_u64_e32 vcc, s[10:11], v[8:9]
	v_sub_u32_e32 v0, v0, v1
	v_mov_b32_e32 v4, 0
	v_mov_b32_e32 v11, v6
	;; [unrolled: 1-line block ×14, first 2 shown]
                                        ; implicit-def: $vgpr22
                                        ; implicit-def: $vgpr20
                                        ; implicit-def: $vgpr32
                                        ; implicit-def: $vgpr38
                                        ; implicit-def: $vgpr28
                                        ; implicit-def: $vgpr18
                                        ; implicit-def: $vgpr35
                                        ; implicit-def: $vgpr15
                                        ; implicit-def: $vgpr30
	s_and_saveexec_b64 s[2:3], vcc
	s_cbranch_execz .LBB0_13
; %bb.10:
	v_cmp_gt_u32_e64 s[0:1], 36, v0
	v_mov_b32_e32 v17, 0
	v_mov_b32_e32 v16, 0
	;; [unrolled: 1-line block ×16, first 2 shown]
                                        ; implicit-def: $vgpr31
                                        ; implicit-def: $vgpr33
                                        ; implicit-def: $vgpr39
                                        ; implicit-def: $vgpr15
                                        ; implicit-def: $vgpr35
                                        ; implicit-def: $vgpr19
                                        ; implicit-def: $vgpr29
                                        ; implicit-def: $vgpr21
                                        ; implicit-def: $vgpr23
	s_and_saveexec_b64 s[6:7], s[0:1]
	s_cbranch_execz .LBB0_12
; %bb.11:
	v_mov_b32_e32 v1, 0
	v_lshl_add_u64 v[4:5], v[2:3], 3, s[8:9]
	v_lshl_add_u64 v[4:5], v[0:1], 3, v[4:5]
	s_movk_i32 s0, 0x1000
	global_load_dwordx2 v[6:7], v[4:5], off
	global_load_dwordx2 v[10:11], v[4:5], off offset:288
	global_load_dwordx2 v[42:43], v[4:5], off offset:576
	;; [unrolled: 1-line block ×14, first 2 shown]
	v_add_co_u32_e64 v4, s[0:1], s0, v4
	s_waitcnt vmcnt(12)
	v_mov_b32_e32 v40, v43
	v_addc_co_u32_e64 v5, s[0:1], 0, v5, s[0:1]
	global_load_dwordx2 v[30:31], v[4:5], off offset:224
	s_waitcnt vmcnt(9)
	v_mov_b32_e32 v41, v26
	v_mov_b32_e32 v26, v42
	s_waitcnt vmcnt(6)
	v_mov_b32_e32 v35, v14
	s_waitcnt vmcnt(5)
	;; [unrolled: 2-line block ×3, first 2 shown]
	v_mov_b32_e32 v38, v37
	v_mov_b32_e32 v32, v36
	;; [unrolled: 1-line block ×3, first 2 shown]
.LBB0_12:
	s_or_b64 exec, exec, s[6:7]
	v_mov_b32_e32 v4, v0
.LBB0_13:
	s_or_b64 exec, exec, s[2:3]
	v_pk_add_f32 v[38:39], v[40:41], v[38:39] neg_lo:[0,1] neg_hi:[0,1]
	v_pk_add_f32 v[46:47], v[26:27], v[32:33] neg_lo:[0,1] neg_hi:[0,1]
	;; [unrolled: 1-line block ×3, first 2 shown]
	v_add_f32_e32 v44, v9, v9
	v_fma_f32 v48, v40, 2.0, -v38
	v_fma_f32 v9, v27, 2.0, -v47
	;; [unrolled: 1-line block ×4, first 2 shown]
	v_sub_f32_e32 v32, v48, v9
	v_add_f32_e32 v9, v38, v39
	v_sub_f32_e32 v26, v1, v5
	v_sub_f32_e32 v5, v46, v47
	v_fma_f32 v27, v38, 2.0, -v9
	s_waitcnt vmcnt(1)
	v_pk_add_f32 v[28:29], v[24:25], v[28:29] neg_lo:[0,1] neg_hi:[0,1]
	v_pk_add_f32 v[20:21], v[10:11], v[20:21] neg_lo:[0,1] neg_hi:[0,1]
	v_add_f32_e32 v36, v11, v11
	v_fma_f32 v14, v46, 2.0, -v5
	v_mul_f32_e32 v39, 0x3f3504f3, v27
	v_mul_f32_e32 v27, 0x3f3504f3, v5
	;; [unrolled: 1-line block ×3, first 2 shown]
	v_fma_f32 v5, v24, 2.0, -v28
	v_fma_f32 v9, v25, 2.0, -v29
	s_waitcnt vmcnt(0)
	v_pk_add_f32 v[24:25], v[16:17], v[30:31] neg_lo:[0,1] neg_hi:[0,1]
	v_mov_b32_e32 v34, v21
	v_mul_f32_e32 v19, 0x3f3504f3, v14
	v_fma_f32 v14, v16, 2.0, -v24
	v_pk_add_f32 v[46:47], v[28:29], v[24:25] op_sel:[0,1] op_sel_hi:[1,0] neg_lo:[0,1] neg_hi:[0,1]
	v_pk_add_f32 v[52:53], v[28:29], v[24:25] op_sel:[0,1] op_sel_hi:[1,0]
	v_pk_add_f32 v[34:35], v[36:37], v[34:35] neg_lo:[0,1] neg_hi:[0,1]
	v_add_f32_e32 v12, v37, v37
	s_mov_b32 s0, 0x3f3504f3
	v_sub_f32_e32 v30, v5, v14
	v_mov_b32_e32 v47, v53
	v_mov_b32_e32 v14, v35
	s_mov_b32 s1, 0x3ec3ef15
	v_fma_f32 v16, v17, 2.0, -v25
	v_pk_fma_f32 v[24:25], v[28:29], 2.0, v[46:47] op_sel_hi:[1,0,1] neg_lo:[0,0,1] neg_hi:[0,0,1]
	v_pk_add_f32 v[36:37], v[12:13], v[14:15] neg_lo:[0,1] neg_hi:[0,1]
	v_pk_mul_f32 v[28:29], v[24:25], s[0:1] op_sel_hi:[1,0]
	v_mov_b32_e32 v45, v8
	v_mov_b32_e32 v24, v43
	;; [unrolled: 1-line block ×3, first 2 shown]
	v_fma_f32 v12, v13, 2.0, -v37
	v_mov_b32_e32 v13, v21
	v_sub_f32_e32 v40, v9, v16
	v_pk_add_f32 v[24:25], v[44:45], v[24:25] neg_lo:[0,1] neg_hi:[0,1]
	v_pk_add_f32 v[12:13], v[34:35], v[12:13] neg_lo:[0,1] neg_hi:[0,1]
	v_pk_add_f32 v[44:45], v[34:35], v[20:21]
	v_fma_f32 v16, v5, 2.0, -v30
	v_fma_f32 v5, v9, 2.0, -v40
	v_mul_f32_e32 v31, 0x3f3504f3, v46
	v_mov_b32_e32 v13, v45
	v_fma_f32 v51, v34, 2.0, -v12
	v_fma_f32 v9, v21, 2.0, -v45
	v_fmac_f32_e32 v45, 0x3f3504f3, v53
	v_mov_b32_e32 v44, v12
	v_fma_f32 v10, v10, 2.0, -v20
	v_mov_b32_e32 v11, v20
	v_sub_f32_e32 v14, v51, v5
	v_sub_f32_e32 v5, v9, v29
	v_pk_add_f32 v[44:45], v[44:45], v[30:31]
	v_pk_add_f32 v[30:31], v[10:11], v[36:37] neg_lo:[0,1] neg_hi:[0,1]
	v_add_f32_e32 v49, v28, v5
	v_fma_f32 v11, v20, 2.0, -v31
	v_mov_b32_e32 v5, v28
	v_pk_add_f32 v[20:21], v[10:11], v[10:11]
	v_pk_add_f32 v[36:37], v[10:11], v[4:5] neg_lo:[0,1] neg_hi:[0,1]
	v_mov_b32_e32 v28, v30
	v_mov_b32_e32 v21, v37
	v_pk_add_f32 v[20:21], v[20:21], v[28:29] neg_lo:[0,1] neg_hi:[0,1]
	v_mul_f32_e32 v41, 0x3f3504f3, v53
	v_fma_f32 v52, v11, 2.0, -v21
	v_fmamk_f32 v11, v46, 0x3f3504f3, v31
	v_mov_b32_e32 v10, v30
	v_pk_add_f32 v[46:47], v[10:11], v[40:41] neg_lo:[0,1] neg_hi:[0,1]
	v_pk_fma_f32 v[12:13], v[12:13], 2.0, v[44:45] op_sel_hi:[1,0,1] neg_lo:[0,0,1] neg_hi:[0,0,1]
	v_pk_fma_f32 v[10:11], v[30:31], 2.0, v[46:47] op_sel_hi:[1,0,1] neg_lo:[0,0,1] neg_hi:[0,0,1]
	s_mov_b32 s3, 0x3f6c835e
	s_mov_b32 s2, s0
	v_mov_b32_e32 v17, 0x3f6c835e
	v_pk_add_f32 v[22:23], v[6:7], v[22:23] neg_lo:[0,1] neg_hi:[0,1]
	v_fma_f32 v50, v9, 2.0, -v49
	v_pk_mul_f32 v[34:35], v[12:13], s[0:1]
	v_pk_mul_f32 v[40:41], v[10:11], s[2:3]
	v_pk_add_f32 v[36:37], v[20:21], v[16:17] neg_lo:[0,1] neg_hi:[0,1]
	v_pk_mul_f32 v[28:29], v[44:45], s[2:3]
	v_pk_mul_f32 v[30:31], v[46:47], s[0:1]
	v_cmp_gt_u32_e64 s[0:1], 36, v0
	s_and_saveexec_b64 s[2:3], s[0:1]
	s_cbranch_execz .LBB0_15
; %bb.14:
	v_fma_f32 v42, v8, 2.0, -v25
	v_fma_f32 v54, v6, 2.0, -v22
	v_mov_b32_e32 v55, v22
	v_pk_add_f32 v[42:43], v[54:55], v[42:43] neg_lo:[0,1] neg_hi:[0,1]
	v_fma_f32 v38, v1, 2.0, -v26
	v_pk_fma_f32 v[54:55], v[54:55], 2.0, v[42:43] op_sel_hi:[1,0,1] neg_lo:[0,0,1] neg_hi:[0,0,1]
	v_add_f32_e32 v57, v43, v27
	v_sub_f32_e32 v59, v55, v19
	v_mov_b32_e32 v58, v54
	v_mov_b32_e32 v56, v42
	v_pk_add_f32 v[58:59], v[58:59], v[38:39] neg_lo:[0,1] neg_hi:[0,1]
	v_pk_add_f32 v[56:57], v[56:57], v[32:33] neg_lo:[0,1] neg_hi:[0,1]
	v_mul_f32_e32 v11, 0x3ec3ef15, v11
	v_pk_fma_f32 v[54:55], v[54:55], 2.0, v[58:59] op_sel_hi:[1,0,1] neg_lo:[0,0,1] neg_hi:[0,0,1]
	v_pk_fma_f32 v[42:43], v[42:43], 2.0, v[56:57] op_sel_hi:[1,0,1] neg_lo:[0,0,1] neg_hi:[0,0,1]
	v_mov_b32_e32 v10, v40
	v_mul_f32_e32 v9, 0x3f6c835e, v47
	v_mul_f32_e32 v13, 0x3f6c835e, v13
	;; [unrolled: 1-line block ×3, first 2 shown]
	v_fma_f32 v46, v20, 2.0, -v36
	v_fmamk_f32 v63, v52, 0xbf6c835e, v55
	v_mov_b32_e32 v62, v54
	v_pk_add_f32 v[10:11], v[42:43], v[10:11] neg_lo:[0,1] neg_hi:[0,1]
	v_mov_b32_e32 v12, v34
	v_pk_add_f32 v[46:47], v[62:63], v[46:47] neg_lo:[0,1] neg_hi:[0,1]
	v_pk_add_f32 v[10:11], v[10:11], v[12:13] neg_lo:[0,1] neg_hi:[0,1]
	v_mov_b32_e32 v8, v30
	v_mul_f32_e32 v45, 0x3ec3ef15, v45
	v_mul_f32_e32 v15, 0x3f6c835e, v49
	v_lshl_add_u32 v1, v0, 6, 0
	v_fmamk_f32 v61, v21, 0x3ec3ef15, v59
	v_pk_fma_f32 v[54:55], v[54:55], 2.0, v[46:47] op_sel_hi:[1,0,1] neg_lo:[0,0,1] neg_hi:[0,0,1]
	v_pk_fma_f32 v[12:13], v[42:43], 2.0, v[10:11] op_sel_hi:[1,0,1] neg_lo:[0,0,1] neg_hi:[0,0,1]
	v_mov_b32_e32 v60, v58
	v_pk_add_f32 v[8:9], v[56:57], v[8:9]
	v_mov_b32_e32 v44, v28
	ds_write2_b64 v1, v[54:55], v[12:13] offset1:1
	v_pk_add_f32 v[12:13], v[60:61], v[14:15] neg_lo:[0,1] neg_hi:[0,1]
	v_pk_add_f32 v[8:9], v[8:9], v[44:45] neg_lo:[0,1] neg_hi:[0,1]
	v_pk_fma_f32 v[42:43], v[58:59], 2.0, v[12:13] op_sel_hi:[1,0,1] neg_lo:[0,0,1] neg_hi:[0,0,1]
	v_pk_fma_f32 v[44:45], v[56:57], 2.0, v[8:9] op_sel_hi:[1,0,1] neg_lo:[0,0,1] neg_hi:[0,0,1]
	ds_write2_b64 v1, v[42:43], v[44:45] offset0:2 offset1:3
	ds_write2_b64 v1, v[46:47], v[10:11] offset0:4 offset1:5
	;; [unrolled: 1-line block ×3, first 2 shown]
.LBB0_15:
	s_or_b64 exec, exec, s[2:3]
	v_lshl_add_u32 v1, v0, 2, 0
	v_add_u32_e32 v15, 0x200, v1
	v_add_u32_e32 v5, 0x400, v1
	s_waitcnt lgkmcnt(0)
	s_barrier
	ds_read2_b32 v[8:9], v1 offset1:96
	ds_read2_b32 v[12:13], v15 offset0:64 offset1:160
	ds_read2_b32 v[10:11], v5 offset0:128 offset1:224
	s_waitcnt lgkmcnt(0)
	s_barrier
	s_and_saveexec_b64 s[2:3], s[0:1]
	s_cbranch_execz .LBB0_17
; %bb.16:
	v_fma_f32 v6, v7, 2.0, -v23
	v_mov_b32_e32 v7, v23
	v_pk_add_f32 v[42:43], v[6:7], v[24:25] neg_lo:[0,1] neg_hi:[0,1]
	v_pk_add_f32 v[22:23], v[22:23], v[24:25]
	v_fma_f32 v18, v48, 2.0, -v32
	v_mov_b32_e32 v43, v23
	v_pk_fma_f32 v[6:7], v[6:7], 2.0, v[42:43] op_sel_hi:[1,0,1] neg_lo:[0,0,1] neg_hi:[0,0,1]
	v_add_f32_e32 v23, v23, v33
	v_sub_f32_e32 v25, v7, v39
	v_mov_b32_e32 v24, v6
	v_pk_add_f32 v[38:39], v[6:7], v[18:19] neg_lo:[0,1] neg_hi:[0,1]
	v_pk_add_f32 v[18:19], v[24:25], v[18:19]
	v_mov_b32_e32 v22, v42
	v_mov_b32_e32 v39, v19
	v_pk_fma_f32 v[6:7], v[6:7], 2.0, v[38:39] op_sel_hi:[1,0,1] neg_lo:[0,0,1] neg_hi:[0,0,1]
	v_pk_add_f32 v[22:23], v[22:23], v[26:27]
	v_fma_f32 v24, v51, 2.0, -v14
	v_pk_fma_f32 v[26:27], v[42:43], 2.0, v[22:23] op_sel_hi:[1,0,1] neg_lo:[0,0,1] neg_hi:[0,0,1]
	v_fmamk_f32 v33, v50, 0xbf6c835e, v7
	v_mov_b32_e32 v32, v6
	v_mul_f32_e32 v25, 0x3ec3ef15, v52
	v_pk_add_f32 v[34:35], v[26:27], v[34:35] neg_lo:[0,1] neg_hi:[0,1]
	v_pk_add_f32 v[42:43], v[6:7], v[24:25] neg_lo:[0,1] neg_hi:[0,1]
	v_pk_add_f32 v[24:25], v[32:33], v[24:25]
	v_pk_mul_f32 v[16:17], v[20:21], v[16:17]
	v_fmac_f32_e32 v19, 0x3ec3ef15, v49
	v_mov_b32_e32 v43, v25
	v_pk_add_f32 v[32:33], v[40:41], v[34:35]
	v_mov_b32_e32 v37, v17
	v_mov_b32_e32 v18, v38
	v_pk_add_f32 v[20:21], v[22:23], v[28:29]
	v_pk_fma_f32 v[6:7], v[6:7], 2.0, v[42:43] op_sel_hi:[1,0,1] neg_lo:[0,0,1] neg_hi:[0,0,1]
	v_pk_fma_f32 v[26:27], v[26:27], 2.0, v[32:33] op_sel_hi:[1,0,1] neg_lo:[0,0,1] neg_hi:[0,0,1]
	v_pk_add_f32 v[16:17], v[18:19], v[36:37]
	v_pk_add_f32 v[20:21], v[30:31], v[20:21]
	v_mad_u32_u24 v14, v0, 60, v1
	v_pk_fma_f32 v[18:19], v[38:39], 2.0, v[16:17] op_sel_hi:[1,0,1] neg_lo:[0,0,1] neg_hi:[0,0,1]
	v_pk_fma_f32 v[22:23], v[22:23], 2.0, v[20:21] op_sel_hi:[1,0,1] neg_lo:[0,0,1] neg_hi:[0,0,1]
	ds_write2_b64 v14, v[6:7], v[26:27] offset1:1
	ds_write2_b64 v14, v[18:19], v[22:23] offset0:2 offset1:3
	ds_write2_b64 v14, v[42:43], v[32:33] offset0:4 offset1:5
	;; [unrolled: 1-line block ×3, first 2 shown]
.LBB0_17:
	s_or_b64 exec, exec, s[2:3]
	v_and_b32_e32 v14, 15, v0
	v_mul_u32_u24_e32 v6, 5, v14
	v_lshlrev_b32_e32 v24, 3, v6
	s_waitcnt lgkmcnt(0)
	s_barrier
	global_load_dwordx4 v[16:19], v24, s[4:5]
	global_load_dwordx4 v[20:23], v24, s[4:5] offset:16
	global_load_dwordx2 v[6:7], v24, s[4:5] offset:32
	ds_read2_b32 v[24:25], v1 offset1:96
	ds_read2_b32 v[26:27], v15 offset0:64 offset1:160
	ds_read2_b32 v[28:29], v5 offset0:128 offset1:224
	v_lshrrev_b32_e32 v30, 4, v0
	v_mul_u32_u24_e32 v30, 0x60, v30
	v_or_b32_e32 v14, v30, v14
	v_lshl_add_u32 v14, v14, 2, 0
	s_waitcnt lgkmcnt(0)
	s_barrier
	s_mov_b32 s0, 0x3f5db3d7
	s_mov_b32 s1, 0xbf5db3d7
	s_waitcnt vmcnt(2)
	v_mul_f32_e32 v30, v25, v17
	v_mul_f32_e32 v17, v9, v17
	;; [unrolled: 1-line block ×4, first 2 shown]
	s_waitcnt vmcnt(1)
	v_mul_f32_e32 v32, v27, v21
	v_mul_f32_e32 v21, v13, v21
	v_mul_f32_e32 v33, v28, v23
	v_mul_f32_e32 v23, v10, v23
	s_waitcnt vmcnt(0)
	v_mul_f32_e32 v34, v29, v7
	v_mul_f32_e32 v7, v11, v7
	v_fmac_f32_e32 v17, v25, v16
	v_fma_f32 v12, v12, v18, -v31
	v_fmac_f32_e32 v19, v26, v18
	v_fma_f32 v13, v13, v20, -v32
	;; [unrolled: 2-line block ×5, first 2 shown]
	v_add_f32_e32 v16, v12, v10
	v_sub_f32_e32 v18, v19, v23
	v_add_f32_e32 v20, v24, v19
	v_add_f32_e32 v19, v19, v23
	;; [unrolled: 1-line block ×3, first 2 shown]
	v_sub_f32_e32 v26, v21, v7
	v_add_f32_e32 v27, v17, v21
	v_add_f32_e32 v21, v21, v7
	;; [unrolled: 1-line block ×3, first 2 shown]
	v_sub_f32_e32 v12, v12, v10
	v_add_f32_e32 v22, v9, v13
	v_sub_f32_e32 v13, v13, v11
	v_fmac_f32_e32 v8, -0.5, v16
	v_fmac_f32_e32 v24, -0.5, v19
	;; [unrolled: 1-line block ×4, first 2 shown]
	v_add_f32_e32 v6, v6, v10
	v_add_f32_e32 v10, v20, v23
	;; [unrolled: 1-line block ×3, first 2 shown]
	v_fmamk_f32 v16, v18, 0x3f5db3d7, v8
	v_fmac_f32_e32 v8, 0xbf5db3d7, v18
	v_fmamk_f32 v18, v12, 0xbf5db3d7, v24
	v_fmac_f32_e32 v24, 0x3f5db3d7, v12
	;; [unrolled: 2-line block ×3, first 2 shown]
	v_fmamk_f32 v19, v13, 0xbf5db3d7, v17
	v_add_f32_e32 v11, v22, v11
	v_fmac_f32_e32 v17, 0x3f5db3d7, v13
	v_add_f32_e32 v20, v10, v7
	v_sub_f32_e32 v21, v10, v7
	v_mul_f32_e32 v7, 0x3f5db3d7, v19
	v_mul_f32_e32 v10, -0.5, v9
	v_add_f32_e32 v13, v6, v11
	v_sub_f32_e32 v6, v6, v11
	v_mul_f32_e32 v11, 0xbf5db3d7, v12
	v_mul_f32_e32 v22, -0.5, v17
	v_fmac_f32_e32 v7, 0.5, v12
	v_fmac_f32_e32 v10, 0x3f5db3d7, v17
	v_fmac_f32_e32 v11, 0.5, v19
	v_fmac_f32_e32 v22, 0xbf5db3d7, v9
	v_add_f32_e32 v9, v16, v7
	v_add_f32_e32 v12, v8, v10
	v_sub_f32_e32 v7, v16, v7
	v_sub_f32_e32 v8, v8, v10
	v_add_f32_e32 v17, v18, v11
	v_sub_f32_e32 v16, v18, v11
	ds_write2_b32 v14, v13, v9 offset1:16
	ds_write2_b32 v14, v12, v6 offset0:32 offset1:48
	ds_write2_b32 v14, v7, v8 offset0:64 offset1:80
	s_waitcnt lgkmcnt(0)
	s_barrier
	ds_read2_b32 v[6:7], v1 offset1:96
	ds_read2_b32 v[8:9], v15 offset0:64 offset1:160
	ds_read2_b32 v[10:11], v5 offset0:128 offset1:224
	v_add_f32_e32 v19, v24, v22
	v_sub_f32_e32 v18, v24, v22
	s_waitcnt lgkmcnt(0)
	s_barrier
	ds_write2_b32 v14, v20, v17 offset1:16
	ds_write2_b32 v14, v19, v21 offset0:32 offset1:48
	ds_write2_b32 v14, v16, v18 offset0:64 offset1:80
	s_waitcnt lgkmcnt(0)
	s_barrier
	s_and_saveexec_b64 s[2:3], vcc
	s_cbranch_execz .LBB0_19
; %bb.18:
	v_mul_u32_u24_e32 v0, 5, v0
	v_lshlrev_b32_e32 v0, 3, v0
	global_load_dwordx4 v[12:15], v0, s[4:5] offset:640
	global_load_dwordx4 v[16:19], v0, s[4:5] offset:656
	global_load_dwordx2 v[20:21], v0, s[4:5] offset:672
	v_add_u32_e32 v23, 0x200, v1
	v_add_u32_e32 v25, 0x400, v1
	ds_read2_b32 v[0:1], v1 offset1:96
	ds_read2_b32 v[34:35], v23 offset0:64 offset1:160
	ds_read2_b32 v[36:37], v25 offset0:128 offset1:224
	v_mov_b32_e32 v5, 0
	v_lshl_add_u64 v[2:3], v[2:3], 3, s[8:9]
	v_mov_b32_e32 v30, v7
	v_mov_b32_e32 v32, v7
	s_waitcnt lgkmcnt(2)
	v_mov_b32_e32 v7, v0
	s_waitcnt lgkmcnt(1)
	;; [unrolled: 2-line block ×3, first 2 shown]
	v_mov_b32_e32 v38, v37
	v_mov_b32_e32 v22, v9
	;; [unrolled: 1-line block ×5, first 2 shown]
	v_lshl_add_u64 v[2:3], v[4:5], 3, v[2:3]
	v_mov_b32_e32 v4, v1
	s_waitcnt vmcnt(2)
	v_pk_mul_f32 v[34:35], v[14:15], v[34:35] op_sel_hi:[1,0]
	s_waitcnt vmcnt(1)
	v_pk_mul_f32 v[36:37], v[18:19], v[36:37] op_sel_hi:[1,0]
	v_pk_mul_f32 v[0:1], v[16:17], v[0:1] op_sel_hi:[1,0]
	s_waitcnt vmcnt(0)
	v_pk_mul_f32 v[38:39], v[20:21], v[38:39] op_sel_hi:[1,0]
	v_pk_mul_f32 v[4:5], v[12:13], v[4:5] op_sel_hi:[1,0]
	v_pk_fma_f32 v[40:41], v[8:9], v[14:15], v[34:35] op_sel:[0,0,1] op_sel_hi:[1,1,0] neg_lo:[0,0,1] neg_hi:[0,0,1]
	v_pk_fma_f32 v[8:9], v[8:9], v[14:15], v[34:35] op_sel:[0,0,1] op_sel_hi:[0,1,0]
	v_pk_fma_f32 v[14:15], v[10:11], v[18:19], v[36:37] op_sel:[0,0,1] op_sel_hi:[1,1,0] neg_lo:[0,0,1] neg_hi:[0,0,1]
	v_pk_fma_f32 v[10:11], v[10:11], v[18:19], v[36:37] op_sel:[0,0,1] op_sel_hi:[0,1,0]
	;; [unrolled: 2-line block ×5, first 2 shown]
	v_mov_b32_e32 v19, v1
	v_mov_b32_e32 v17, v21
	;; [unrolled: 1-line block ×5, first 2 shown]
	v_pk_add_f32 v[10:11], v[18:19], v[16:17]
	v_pk_add_f32 v[0:1], v[6:7], v[40:41]
	;; [unrolled: 1-line block ×3, first 2 shown]
	v_pk_add_f32 v[8:9], v[18:19], v[16:17] neg_lo:[0,1] neg_hi:[0,1]
	v_pk_add_f32 v[12:13], v[40:41], v[14:15]
	v_pk_add_f32 v[18:19], v[40:41], v[14:15] neg_lo:[0,1] neg_hi:[0,1]
	v_pk_fma_f32 v[10:11], v[10:11], 0.5, v[22:23] op_sel_hi:[1,0,1] neg_lo:[1,0,0] neg_hi:[1,0,0]
	v_pk_add_f32 v[0:1], v[0:1], v[14:15]
	v_pk_add_f32 v[4:5], v[4:5], v[16:17]
	v_pk_fma_f32 v[6:7], v[12:13], 0.5, v[6:7] op_sel_hi:[1,0,1] neg_lo:[1,0,0] neg_hi:[1,0,0]
	v_pk_mul_f32 v[12:13], v[18:19], s[0:1] op_sel_hi:[1,0]
	v_pk_fma_f32 v[16:17], v[8:9], s[0:1], v[10:11] op_sel:[0,0,1] op_sel_hi:[1,0,0]
	v_pk_fma_f32 v[8:9], v[8:9], s[0:1], v[10:11] op_sel:[0,0,1] op_sel_hi:[1,0,0] neg_lo:[1,0,0] neg_hi:[1,0,0]
	v_pk_add_f32 v[14:15], v[0:1], v[4:5]
	v_pk_add_f32 v[10:11], v[6:7], v[12:13] op_sel:[0,1] op_sel_hi:[1,0] neg_lo:[0,1] neg_hi:[0,1]
	v_pk_add_f32 v[6:7], v[6:7], v[12:13] op_sel:[0,1] op_sel_hi:[1,0]
	v_pk_add_f32 v[0:1], v[0:1], v[4:5] neg_lo:[0,1] neg_hi:[0,1]
	v_mov_b32_e32 v4, v16
	v_mov_b32_e32 v5, v9
	;; [unrolled: 1-line block ×3, first 2 shown]
	v_mul_f32_e32 v7, 0xbf5db3d7, v17
	v_mul_f32_e32 v9, 0x3f5db3d7, v8
	global_store_dwordx2 v[2:3], v[0:1], off offset:2304
	v_pk_mul_f32 v[0:1], v[4:5], 0.5 op_sel_hi:[1,0]
	v_mov_b32_e32 v12, v10
	v_fmac_f32_e32 v7, 0.5, v8
	v_fmac_f32_e32 v9, 0.5, v17
	v_pk_fma_f32 v[0:1], v[4:5], s[0:1], v[0:1] op_sel:[0,0,1] op_sel_hi:[1,1,0] neg_lo:[0,0,1] neg_hi:[0,0,1]
	v_sub_f32_e32 v5, v11, v7
	v_sub_f32_e32 v4, v6, v9
	v_add_f32_e32 v7, v11, v7
	v_add_f32_e32 v6, v6, v9
	v_pk_add_f32 v[8:9], v[12:13], v[0:1]
	global_store_dwordx2 v[2:3], v[14:15], off
	global_store_dwordx2 v[2:3], v[6:7], off offset:768
	global_store_dwordx2 v[2:3], v[4:5], off offset:3072
	v_pk_add_f32 v[0:1], v[12:13], v[0:1] neg_lo:[0,1] neg_hi:[0,1]
	global_store_dwordx2 v[2:3], v[8:9], off offset:1536
	global_store_dwordx2 v[2:3], v[0:1], off offset:3840
.LBB0_19:
	s_endpgm
	.section	.rodata,"a",@progbits
	.p2align	6, 0x0
	.amdhsa_kernel fft_rtc_fwd_len576_factors_16_6_6_wgs_96_tpt_96_halfLds_sp_ip_CI_unitstride_sbrr_dirReg
		.amdhsa_group_segment_fixed_size 0
		.amdhsa_private_segment_fixed_size 0
		.amdhsa_kernarg_size 88
		.amdhsa_user_sgpr_count 2
		.amdhsa_user_sgpr_dispatch_ptr 0
		.amdhsa_user_sgpr_queue_ptr 0
		.amdhsa_user_sgpr_kernarg_segment_ptr 1
		.amdhsa_user_sgpr_dispatch_id 0
		.amdhsa_user_sgpr_kernarg_preload_length 0
		.amdhsa_user_sgpr_kernarg_preload_offset 0
		.amdhsa_user_sgpr_private_segment_size 0
		.amdhsa_uses_dynamic_stack 0
		.amdhsa_enable_private_segment 0
		.amdhsa_system_sgpr_workgroup_id_x 1
		.amdhsa_system_sgpr_workgroup_id_y 0
		.amdhsa_system_sgpr_workgroup_id_z 0
		.amdhsa_system_sgpr_workgroup_info 0
		.amdhsa_system_vgpr_workitem_id 0
		.amdhsa_next_free_vgpr 64
		.amdhsa_next_free_sgpr 22
		.amdhsa_accum_offset 64
		.amdhsa_reserve_vcc 1
		.amdhsa_float_round_mode_32 0
		.amdhsa_float_round_mode_16_64 0
		.amdhsa_float_denorm_mode_32 3
		.amdhsa_float_denorm_mode_16_64 3
		.amdhsa_dx10_clamp 1
		.amdhsa_ieee_mode 1
		.amdhsa_fp16_overflow 0
		.amdhsa_tg_split 0
		.amdhsa_exception_fp_ieee_invalid_op 0
		.amdhsa_exception_fp_denorm_src 0
		.amdhsa_exception_fp_ieee_div_zero 0
		.amdhsa_exception_fp_ieee_overflow 0
		.amdhsa_exception_fp_ieee_underflow 0
		.amdhsa_exception_fp_ieee_inexact 0
		.amdhsa_exception_int_div_zero 0
	.end_amdhsa_kernel
	.text
.Lfunc_end0:
	.size	fft_rtc_fwd_len576_factors_16_6_6_wgs_96_tpt_96_halfLds_sp_ip_CI_unitstride_sbrr_dirReg, .Lfunc_end0-fft_rtc_fwd_len576_factors_16_6_6_wgs_96_tpt_96_halfLds_sp_ip_CI_unitstride_sbrr_dirReg
                                        ; -- End function
	.section	.AMDGPU.csdata,"",@progbits
; Kernel info:
; codeLenInByte = 4008
; NumSgprs: 28
; NumVgprs: 64
; NumAgprs: 0
; TotalNumVgprs: 64
; ScratchSize: 0
; MemoryBound: 0
; FloatMode: 240
; IeeeMode: 1
; LDSByteSize: 0 bytes/workgroup (compile time only)
; SGPRBlocks: 3
; VGPRBlocks: 7
; NumSGPRsForWavesPerEU: 28
; NumVGPRsForWavesPerEU: 64
; AccumOffset: 64
; Occupancy: 8
; WaveLimiterHint : 1
; COMPUTE_PGM_RSRC2:SCRATCH_EN: 0
; COMPUTE_PGM_RSRC2:USER_SGPR: 2
; COMPUTE_PGM_RSRC2:TRAP_HANDLER: 0
; COMPUTE_PGM_RSRC2:TGID_X_EN: 1
; COMPUTE_PGM_RSRC2:TGID_Y_EN: 0
; COMPUTE_PGM_RSRC2:TGID_Z_EN: 0
; COMPUTE_PGM_RSRC2:TIDIG_COMP_CNT: 0
; COMPUTE_PGM_RSRC3_GFX90A:ACCUM_OFFSET: 15
; COMPUTE_PGM_RSRC3_GFX90A:TG_SPLIT: 0
	.text
	.p2alignl 6, 3212836864
	.fill 256, 4, 3212836864
	.type	__hip_cuid_5dfdfd689a20d7a1,@object ; @__hip_cuid_5dfdfd689a20d7a1
	.section	.bss,"aw",@nobits
	.globl	__hip_cuid_5dfdfd689a20d7a1
__hip_cuid_5dfdfd689a20d7a1:
	.byte	0                               ; 0x0
	.size	__hip_cuid_5dfdfd689a20d7a1, 1

	.ident	"AMD clang version 19.0.0git (https://github.com/RadeonOpenCompute/llvm-project roc-6.4.0 25133 c7fe45cf4b819c5991fe208aaa96edf142730f1d)"
	.section	".note.GNU-stack","",@progbits
	.addrsig
	.addrsig_sym __hip_cuid_5dfdfd689a20d7a1
	.amdgpu_metadata
---
amdhsa.kernels:
  - .agpr_count:     0
    .args:
      - .actual_access:  read_only
        .address_space:  global
        .offset:         0
        .size:           8
        .value_kind:     global_buffer
      - .offset:         8
        .size:           8
        .value_kind:     by_value
      - .actual_access:  read_only
        .address_space:  global
        .offset:         16
        .size:           8
        .value_kind:     global_buffer
      - .actual_access:  read_only
        .address_space:  global
        .offset:         24
        .size:           8
        .value_kind:     global_buffer
      - .offset:         32
        .size:           8
        .value_kind:     by_value
      - .actual_access:  read_only
        .address_space:  global
        .offset:         40
        .size:           8
        .value_kind:     global_buffer
      - .actual_access:  read_only
        .address_space:  global
        .offset:         48
        .size:           8
        .value_kind:     global_buffer
      - .offset:         56
        .size:           4
        .value_kind:     by_value
      - .actual_access:  read_only
        .address_space:  global
        .offset:         64
        .size:           8
        .value_kind:     global_buffer
      - .actual_access:  read_only
        .address_space:  global
        .offset:         72
        .size:           8
        .value_kind:     global_buffer
      - .address_space:  global
        .offset:         80
        .size:           8
        .value_kind:     global_buffer
    .group_segment_fixed_size: 0
    .kernarg_segment_align: 8
    .kernarg_segment_size: 88
    .language:       OpenCL C
    .language_version:
      - 2
      - 0
    .max_flat_workgroup_size: 96
    .name:           fft_rtc_fwd_len576_factors_16_6_6_wgs_96_tpt_96_halfLds_sp_ip_CI_unitstride_sbrr_dirReg
    .private_segment_fixed_size: 0
    .sgpr_count:     28
    .sgpr_spill_count: 0
    .symbol:         fft_rtc_fwd_len576_factors_16_6_6_wgs_96_tpt_96_halfLds_sp_ip_CI_unitstride_sbrr_dirReg.kd
    .uniform_work_group_size: 1
    .uses_dynamic_stack: false
    .vgpr_count:     64
    .vgpr_spill_count: 0
    .wavefront_size: 64
amdhsa.target:   amdgcn-amd-amdhsa--gfx950
amdhsa.version:
  - 1
  - 2
...

	.end_amdgpu_metadata
